;; amdgpu-corpus repo=ROCm/rocFFT kind=compiled arch=gfx1030 opt=O3
	.text
	.amdgcn_target "amdgcn-amd-amdhsa--gfx1030"
	.amdhsa_code_object_version 6
	.protected	fft_rtc_fwd_len128_factors_16_8_wgs_256_tpt_16_sp_ip_CI_sbcc_twdbase6_3step_dirReg_intrinsicReadWrite ; -- Begin function fft_rtc_fwd_len128_factors_16_8_wgs_256_tpt_16_sp_ip_CI_sbcc_twdbase6_3step_dirReg_intrinsicReadWrite
	.globl	fft_rtc_fwd_len128_factors_16_8_wgs_256_tpt_16_sp_ip_CI_sbcc_twdbase6_3step_dirReg_intrinsicReadWrite
	.p2align	8
	.type	fft_rtc_fwd_len128_factors_16_8_wgs_256_tpt_16_sp_ip_CI_sbcc_twdbase6_3step_dirReg_intrinsicReadWrite,@function
fft_rtc_fwd_len128_factors_16_8_wgs_256_tpt_16_sp_ip_CI_sbcc_twdbase6_3step_dirReg_intrinsicReadWrite: ; @fft_rtc_fwd_len128_factors_16_8_wgs_256_tpt_16_sp_ip_CI_sbcc_twdbase6_3step_dirReg_intrinsicReadWrite
; %bb.0:
	s_load_dwordx8 s[8:15], s[4:5], 0x8
	s_mov_b32 s0, exec_lo
	v_cmpx_gt_u32_e32 0xc0, v0
	s_cbranch_execz .LBB0_2
; %bb.1:
	v_lshlrev_b32_e32 v3, 3, v0
	s_waitcnt lgkmcnt(0)
	global_load_dwordx2 v[1:2], v3, s[8:9]
	v_add_nc_u32_e32 v3, 0, v3
	s_waitcnt vmcnt(0)
	ds_write_b64 v3, v[1:2] offset:16384
.LBB0_2:
	s_or_b32 exec_lo, exec_lo, s0
	s_waitcnt lgkmcnt(0)
	s_load_dwordx2 s[20:21], s[12:13], 0x8
	s_mov_b32 s7, 0
	s_mov_b64 s[22:23], 0
	s_waitcnt lgkmcnt(0)
	s_add_u32 s0, s20, -1
	s_addc_u32 s1, s21, -1
	s_lshr_b64 s[0:1], s[0:1], 4
	s_add_u32 s0, s0, 1
	s_addc_u32 s1, s1, 0
	v_cmp_lt_u64_e64 s2, s[6:7], s[0:1]
	s_and_b32 vcc_lo, exec_lo, s2
	s_cbranch_vccnz .LBB0_4
; %bb.3:
	v_cvt_f32_u32_e32 v1, s0
	s_sub_i32 s3, 0, s0
	s_mov_b32 s23, s7
	v_rcp_iflag_f32_e32 v1, v1
	v_mul_f32_e32 v1, 0x4f7ffffe, v1
	v_cvt_u32_f32_e32 v1, v1
	v_readfirstlane_b32 s2, v1
	s_mul_i32 s3, s3, s2
	s_mul_hi_u32 s3, s2, s3
	s_add_i32 s2, s2, s3
	s_mul_hi_u32 s2, s6, s2
	s_mul_i32 s3, s2, s0
	s_add_i32 s8, s2, 1
	s_sub_i32 s3, s6, s3
	s_sub_i32 s9, s3, s0
	s_cmp_ge_u32 s3, s0
	s_cselect_b32 s2, s8, s2
	s_cselect_b32 s3, s9, s3
	s_add_i32 s8, s2, 1
	s_cmp_ge_u32 s3, s0
	s_cselect_b32 s22, s8, s2
.LBB0_4:
	s_load_dwordx4 s[16:19], s[14:15], 0x0
	s_mul_i32 s2, s22, s1
	s_mul_hi_u32 s3, s22, s0
	s_mul_i32 s8, s22, s0
	s_add_i32 s3, s3, s2
	s_sub_u32 s24, s6, s8
	s_subb_u32 s25, 0, s3
	s_clause 0x1
	s_load_dwordx2 s[8:9], s[4:5], 0x58
	s_load_dwordx2 s[2:3], s[4:5], 0x0
	v_alignbit_b32 v1, s25, s24, 28
	s_lshl_b64 s[4:5], s[24:25], 4
	s_waitcnt lgkmcnt(0)
	v_cmp_lt_u64_e64 s17, s[10:11], 3
	s_and_b32 vcc_lo, exec_lo, s17
	v_mul_lo_u32 v1, s18, v1
	s_mul_hi_u32 s24, s18, s4
	s_mul_i32 s17, s18, s4
	v_mov_b32_e32 v3, s17
	v_add_nc_u32_e32 v1, s24, v1
	s_mul_i32 s24, s19, s4
	v_add_nc_u32_e32 v4, s24, v1
	s_cbranch_vccnz .LBB0_11
; %bb.5:
	s_add_u32 s24, s14, 16
	s_addc_u32 s25, s15, 0
	s_add_u32 s12, s12, 16
	s_addc_u32 s13, s13, 0
	s_mov_b64 s[26:27], 2
	s_mov_b32 s28, 0
	s_branch .LBB0_7
.LBB0_6:                                ;   in Loop: Header=BB0_7 Depth=1
	s_load_dwordx2 s[36:37], s[24:25], 0x0
	s_mul_i32 s1, s30, s1
	s_mul_hi_u32 s17, s30, s0
	s_mul_i32 s29, s31, s0
	s_mul_i32 s31, s34, s31
	s_mul_hi_u32 s33, s34, s30
	s_mul_i32 s38, s35, s30
	s_add_i32 s1, s17, s1
	s_add_i32 s17, s33, s31
	s_mul_i32 s39, s34, s30
	s_add_i32 s1, s1, s29
	s_add_i32 s17, s17, s38
	s_sub_u32 s22, s22, s39
	s_subb_u32 s17, s23, s17
	s_mul_i32 s0, s30, s0
	s_waitcnt lgkmcnt(0)
	s_mul_i32 s17, s36, s17
	s_mul_hi_u32 s23, s36, s22
	s_mul_i32 s29, s37, s22
	s_add_i32 s17, s23, s17
	s_mul_i32 s22, s36, s22
	s_add_i32 s17, s17, s29
	s_add_u32 s26, s26, 1
	s_addc_u32 s27, s27, 0
	v_add_co_u32 v3, vcc_lo, s22, v3
	v_cmp_ge_u64_e64 s23, s[26:27], s[10:11]
	v_add_co_ci_u32_e32 v4, vcc_lo, s17, v4, vcc_lo
	s_add_u32 s24, s24, 8
	s_addc_u32 s25, s25, 0
	s_add_u32 s12, s12, 8
	s_addc_u32 s13, s13, 0
	s_and_b32 vcc_lo, exec_lo, s23
	s_mov_b64 s[22:23], s[34:35]
	s_cbranch_vccnz .LBB0_12
.LBB0_7:                                ; =>This Inner Loop Header: Depth=1
	s_load_dwordx2 s[30:31], s[12:13], 0x0
	s_mov_b32 s17, -1
	s_waitcnt lgkmcnt(0)
	s_or_b64 s[34:35], s[22:23], s[30:31]
	s_mov_b32 s29, s35
                                        ; implicit-def: $sgpr34_sgpr35
	s_cmp_lg_u64 s[28:29], 0
	s_cbranch_scc0 .LBB0_9
; %bb.8:                                ;   in Loop: Header=BB0_7 Depth=1
	v_cvt_f32_u32_e32 v1, s30
	v_cvt_f32_u32_e32 v2, s31
	s_sub_u32 s33, 0, s30
	s_subb_u32 s34, 0, s31
	v_fmac_f32_e32 v1, 0x4f800000, v2
	v_rcp_f32_e32 v1, v1
	v_mul_f32_e32 v1, 0x5f7ffffc, v1
	v_mul_f32_e32 v2, 0x2f800000, v1
	v_trunc_f32_e32 v2, v2
	v_fmac_f32_e32 v1, 0xcf800000, v2
	v_cvt_u32_f32_e32 v2, v2
	v_cvt_u32_f32_e32 v1, v1
	v_readfirstlane_b32 s17, v2
	v_readfirstlane_b32 s29, v1
	s_mul_i32 s35, s33, s17
	s_mul_hi_u32 s37, s33, s29
	s_mul_i32 s36, s34, s29
	s_add_i32 s35, s37, s35
	s_mul_i32 s38, s33, s29
	s_add_i32 s35, s35, s36
	s_mul_hi_u32 s37, s29, s38
	s_mul_hi_u32 s39, s17, s38
	s_mul_i32 s36, s17, s38
	s_mul_hi_u32 s38, s29, s35
	s_mul_i32 s29, s29, s35
	s_mul_hi_u32 s40, s17, s35
	s_add_u32 s29, s37, s29
	s_addc_u32 s37, 0, s38
	s_add_u32 s29, s29, s36
	s_mul_i32 s35, s17, s35
	s_addc_u32 s29, s37, s39
	s_addc_u32 s36, s40, 0
	s_add_u32 s29, s29, s35
	s_addc_u32 s35, 0, s36
	v_add_co_u32 v1, s29, v1, s29
	s_cmp_lg_u32 s29, 0
	s_addc_u32 s17, s17, s35
	v_readfirstlane_b32 s29, v1
	s_mul_i32 s35, s33, s17
	s_mul_hi_u32 s36, s33, s29
	s_mul_i32 s34, s34, s29
	s_add_i32 s35, s36, s35
	s_mul_i32 s33, s33, s29
	s_add_i32 s35, s35, s34
	s_mul_hi_u32 s36, s17, s33
	s_mul_i32 s37, s17, s33
	s_mul_hi_u32 s33, s29, s33
	s_mul_hi_u32 s38, s29, s35
	s_mul_i32 s29, s29, s35
	s_mul_hi_u32 s34, s17, s35
	s_add_u32 s29, s33, s29
	s_addc_u32 s33, 0, s38
	s_add_u32 s29, s29, s37
	s_mul_i32 s35, s17, s35
	s_addc_u32 s29, s33, s36
	s_addc_u32 s33, s34, 0
	s_add_u32 s29, s29, s35
	s_addc_u32 s33, 0, s33
	v_add_co_u32 v1, s29, v1, s29
	s_cmp_lg_u32 s29, 0
	s_addc_u32 s17, s17, s33
	v_readfirstlane_b32 s29, v1
	s_mul_i32 s34, s22, s17
	s_mul_hi_u32 s33, s22, s17
	s_mul_hi_u32 s35, s23, s17
	s_mul_i32 s17, s23, s17
	s_mul_hi_u32 s36, s22, s29
	s_mul_hi_u32 s37, s23, s29
	s_mul_i32 s29, s23, s29
	s_add_u32 s34, s36, s34
	s_addc_u32 s33, 0, s33
	s_add_u32 s29, s34, s29
	s_addc_u32 s29, s33, s37
	s_addc_u32 s33, s35, 0
	s_add_u32 s29, s29, s17
	s_addc_u32 s33, 0, s33
	s_mul_hi_u32 s17, s30, s29
	s_mul_i32 s35, s30, s33
	s_mul_i32 s36, s30, s29
	s_add_i32 s17, s17, s35
	v_sub_co_u32 v1, s35, s22, s36
	s_mul_i32 s34, s31, s29
	s_add_i32 s17, s17, s34
	v_sub_co_u32 v2, s36, v1, s30
	s_sub_i32 s34, s23, s17
	s_cmp_lg_u32 s35, 0
	s_subb_u32 s34, s34, s31
	s_cmp_lg_u32 s36, 0
	v_readfirstlane_b32 s36, v2
	s_subb_u32 s34, s34, 0
	s_cmp_ge_u32 s34, s31
	s_cselect_b32 s37, -1, 0
	s_cmp_ge_u32 s36, s30
	s_cselect_b32 s36, -1, 0
	s_cmp_eq_u32 s34, s31
	s_cselect_b32 s34, s36, s37
	s_add_u32 s36, s29, 1
	s_addc_u32 s37, s33, 0
	s_add_u32 s38, s29, 2
	s_addc_u32 s39, s33, 0
	s_cmp_lg_u32 s34, 0
	s_cselect_b32 s34, s38, s36
	s_cselect_b32 s36, s39, s37
	s_cmp_lg_u32 s35, 0
	v_readfirstlane_b32 s35, v1
	s_subb_u32 s17, s23, s17
	s_cmp_ge_u32 s17, s31
	s_cselect_b32 s37, -1, 0
	s_cmp_ge_u32 s35, s30
	s_cselect_b32 s35, -1, 0
	s_cmp_eq_u32 s17, s31
	s_cselect_b32 s17, s35, s37
	s_cmp_lg_u32 s17, 0
	s_mov_b32 s17, 0
	s_cselect_b32 s35, s36, s33
	s_cselect_b32 s34, s34, s29
.LBB0_9:                                ;   in Loop: Header=BB0_7 Depth=1
	s_andn2_b32 vcc_lo, exec_lo, s17
	s_cbranch_vccnz .LBB0_6
; %bb.10:                               ;   in Loop: Header=BB0_7 Depth=1
	v_cvt_f32_u32_e32 v1, s30
	s_sub_i32 s29, 0, s30
	s_mov_b32 s35, s28
	v_rcp_iflag_f32_e32 v1, v1
	v_mul_f32_e32 v1, 0x4f7ffffe, v1
	v_cvt_u32_f32_e32 v1, v1
	v_readfirstlane_b32 s17, v1
	s_mul_i32 s29, s29, s17
	s_mul_hi_u32 s29, s17, s29
	s_add_i32 s17, s17, s29
	s_mul_hi_u32 s17, s22, s17
	s_mul_i32 s29, s17, s30
	s_add_i32 s33, s17, 1
	s_sub_i32 s29, s22, s29
	s_sub_i32 s34, s29, s30
	s_cmp_ge_u32 s29, s30
	s_cselect_b32 s17, s33, s17
	s_cselect_b32 s29, s34, s29
	s_add_i32 s33, s17, 1
	s_cmp_ge_u32 s29, s30
	s_cselect_b32 s34, s33, s17
	s_branch .LBB0_6
.LBB0_11:
	v_mov_b32_e32 v1, s22
	v_mov_b32_e32 v2, s23
	s_branch .LBB0_14
.LBB0_12:
	v_cmp_lt_u64_e64 s1, s[6:7], s[0:1]
	v_mov_b32_e32 v1, 0
	v_mov_b32_e32 v2, 0
	s_and_b32 vcc_lo, exec_lo, s1
	s_cbranch_vccnz .LBB0_14
; %bb.13:
	v_cvt_f32_u32_e32 v1, s0
	s_sub_i32 s1, 0, s0
	v_rcp_iflag_f32_e32 v1, v1
	v_mul_f32_e32 v1, 0x4f7ffffe, v1
	v_cvt_u32_f32_e32 v1, v1
	v_mul_lo_u32 v2, s1, v1
	v_mul_hi_u32 v2, v1, v2
	v_add_nc_u32_e32 v1, v1, v2
	v_mul_hi_u32 v1, s6, v1
	v_mul_lo_u32 v2, v1, s0
	v_add_nc_u32_e32 v4, 1, v1
	v_sub_nc_u32_e32 v2, s6, v2
	v_subrev_nc_u32_e32 v5, s0, v2
	v_cmp_le_u32_e32 vcc_lo, s0, v2
	v_cndmask_b32_e32 v2, v2, v5, vcc_lo
	v_cndmask_b32_e32 v1, v1, v4, vcc_lo
	v_cmp_le_u32_e32 vcc_lo, s0, v2
	v_add_nc_u32_e32 v4, 1, v1
	v_cndmask_b32_e32 v1, v1, v4, vcc_lo
.LBB0_14:
	v_and_b32_e32 v44, 15, v0
	s_lshl_b64 s[0:1], s[10:11], 3
	v_mov_b32_e32 v13, s5
	s_add_u32 s0, s14, s0
	s_addc_u32 s1, s15, s1
	v_or_b32_e32 v12, s4, v44
	s_load_dword s12, s[0:1], 0x0
	s_add_u32 s6, s4, 16
	v_cmp_gt_u32_e64 s1, 0x80, v0
	s_addc_u32 s7, s5, 0
	v_cmp_gt_u64_e32 vcc_lo, s[20:21], v[12:13]
	v_cmp_le_u64_e64 s4, s[6:7], s[20:21]
	v_cmp_lt_u32_e64 s0, 0x7f, v0
	v_lshrrev_b32_e32 v47, 4, v0
	v_cndmask_b32_e64 v0, 0, 1, s1
	v_mad_u64_u32 v[14:15], null, s18, v44, 0
	v_cndmask_b32_e64 v8, 0, 1, vcc_lo
	s_or_b32 s0, s0, s4
	v_mul_lo_u32 v36, s16, v47
	v_or_b32_e32 v4, 16, v47
	v_or_b32_e32 v6, 32, v47
	v_cndmask_b32_e64 v0, v8, v0, s0
	v_add_nc_u32_e32 v9, 56, v47
	v_add_nc_u32_e32 v5, 24, v47
	v_mul_lo_u32 v37, s16, v4
	s_waitcnt lgkmcnt(0)
	v_mul_lo_u32 v1, s12, v1
	v_and_b32_e32 v0, 1, v0
	v_mul_lo_u32 v13, s16, v6
	v_add_lshl_u32 v4, v14, v36, 3
	v_mul_lo_u32 v6, s16, v9
	v_add_nc_u32_e32 v7, 40, v47
	v_cmp_eq_u32_e64 s0, 1, v0
	v_add_nc_u32_e32 v2, 8, v47
	v_add_nc_u32_e32 v1, v1, v3
	v_mul_lo_u32 v3, s16, v5
	v_add_lshl_u32 v5, v14, v13, 3
	v_cndmask_b32_e64 v0, -1, v4, s0
	v_add_lshl_u32 v4, v14, v37, 3
	v_lshlrev_b32_e32 v39, 3, v1
	v_mul_lo_u32 v1, s16, v7
	v_cndmask_b32_e64 v16, -1, v5, s0
	v_or_b32_e32 v5, 64, v47
	v_cndmask_b32_e64 v7, -1, v4, s0
	v_add_lshl_u32 v4, v14, v6, 3
	v_add_nc_u32_e32 v6, 0x48, v47
	v_or_b32_e32 v8, 0x50, v47
	v_add_nc_u32_e32 v23, 0x58, v47
	v_or_b32_e32 v46, 48, v47
	v_or_b32_e32 v24, 0x60, v47
	v_mul_lo_u32 v20, s16, v6
	v_add_nc_u32_e32 v25, 0x68, v47
	v_or_b32_e32 v45, 0x70, v47
	v_mul_lo_u32 v41, s16, v5
	v_add_nc_u32_e32 v26, 0x78, v47
	v_mul_lo_u32 v2, s16, v2
	v_mul_lo_u32 v40, s16, v8
	;; [unrolled: 1-line block ×8, first 2 shown]
	v_add_lshl_u32 v20, v14, v20, 3
	v_add_lshl_u32 v1, v14, v1, 3
	;; [unrolled: 1-line block ×6, first 2 shown]
	v_cndmask_b32_e64 v26, -1, v20, s0
	v_add_lshl_u32 v20, v14, v23, 3
	v_cndmask_b32_e64 v17, -1, v1, s0
	v_add_lshl_u32 v1, v14, v38, 3
	v_add_lshl_u32 v23, v14, v43, 3
	;; [unrolled: 1-line block ×4, first 2 shown]
	v_readfirstlane_b32 s5, v39
	v_cndmask_b32_e64 v21, -1, v21, s0
	v_add_lshl_u32 v25, v14, v25, 3
	v_cndmask_b32_e64 v2, -1, v2, s0
	v_cndmask_b32_e64 v22, -1, v22, s0
	s_mov_b32 s11, 0x31014000
	s_mov_b32 s10, -2
	v_cndmask_b32_e64 v3, -1, v3, s0
	v_cndmask_b32_e64 v28, -1, v20, s0
	;; [unrolled: 1-line block ×7, first 2 shown]
	s_clause 0x7
	buffer_load_dwordx2 v[4:5], v0, s[8:11], s5 offen
	buffer_load_dwordx2 v[10:11], v2, s[8:11], s5 offen
	;; [unrolled: 1-line block ×8, first 2 shown]
	v_cndmask_b32_e64 v48, -1, v25, s0
	s_clause 0x7
	buffer_load_dwordx2 v[20:21], v21, s[8:11], s5 offen
	buffer_load_dwordx2 v[24:25], v26, s[8:11], s5 offen
	;; [unrolled: 1-line block ×8, first 2 shown]
	s_waitcnt vmcnt(10)
	v_mad_u64_u32 v[48:49], null, s19, v44, v[15:16]
	v_lshlrev_b32_e32 v44, 3, v44
	s_and_saveexec_b32 s0, s1
	s_cbranch_execz .LBB0_16
; %bb.15:
	s_waitcnt vmcnt(1)
	v_sub_f32_e32 v15, v2, v34
	v_sub_f32_e32 v21, v5, v21
	;; [unrolled: 1-line block ×8, first 2 shown]
	s_waitcnt vmcnt(0)
	v_sub_f32_e32 v28, v18, v28
	v_sub_f32_e32 v31, v9, v31
	;; [unrolled: 1-line block ×6, first 2 shown]
	v_fma_f32 v0, v0, 2.0, -v32
	v_fma_f32 v2, v2, 2.0, -v15
	;; [unrolled: 1-line block ×4, first 2 shown]
	v_sub_f32_e32 v34, v3, v35
	v_add_f32_e32 v35, v33, v15
	v_add_f32_e32 v48, v21, v22
	v_sub_f32_e32 v24, v10, v24
	v_add_f32_e32 v49, v31, v28
	v_add_f32_e32 v50, v25, v26
	v_sub_f32_e32 v58, v0, v2
	v_sub_f32_e32 v59, v5, v7
	v_fma_f32 v60, v8, 2.0, -v30
	v_fma_f32 v2, v18, 2.0, -v28
	;; [unrolled: 1-line block ×6, first 2 shown]
	v_sub_f32_e32 v51, v32, v34
	v_fmamk_f32 v52, v35, 0x3f3504f3, v48
	v_sub_f32_e32 v53, v30, v29
	v_sub_f32_e32 v54, v24, v27
	v_fmamk_f32 v55, v49, 0x3f3504f3, v50
	v_fma_f32 v10, v10, 2.0, -v24
	v_fma_f32 v8, v16, 2.0, -v26
	v_sub_f32_e32 v16, v60, v2
	v_sub_f32_e32 v26, v11, v7
	;; [unrolled: 1-line block ×3, first 2 shown]
	v_fma_f32 v9, v4, 2.0, -v56
	v_fma_f32 v6, v6, 2.0, -v22
	v_fmac_f32_e32 v52, 0x3f3504f3, v51
	v_fmamk_f32 v23, v53, 0x3f3504f3, v54
	v_fmac_f32_e32 v55, 0x3f3504f3, v53
	v_sub_f32_e32 v57, v56, v20
	v_add_f32_e32 v27, v59, v58
	v_sub_f32_e32 v28, v10, v8
	v_add_f32_e32 v29, v26, v16
	v_sub_f32_e32 v62, v9, v6
	v_fma_f32 v22, v1, 2.0, -v33
	v_fma_f32 v1, v3, 2.0, -v34
	;; [unrolled: 1-line block ×6, first 2 shown]
	v_fmac_f32_e32 v23, 0xbf3504f3, v49
	v_fmamk_f32 v20, v55, 0x3f6c835e, v52
	v_fmamk_f32 v15, v51, 0x3f3504f3, v57
	v_sub_f32_e32 v61, v28, v18
	v_fmamk_f32 v2, v29, 0x3f3504f3, v27
	v_fma_f32 v3, v32, 2.0, -v51
	v_fma_f32 v32, v24, 2.0, -v54
	;; [unrolled: 1-line block ×4, first 2 shown]
	v_sub_f32_e32 v24, v22, v1
	v_fmamk_f32 v31, v6, 0xbf3504f3, v21
	v_fmamk_f32 v34, v8, 0xbf3504f3, v25
	v_fmac_f32_e32 v15, 0xbf3504f3, v35
	v_fmac_f32_e32 v20, 0x3ec3ef15, v23
	;; [unrolled: 1-line block ×3, first 2 shown]
	v_fmamk_f32 v33, v7, 0xbf3504f3, v32
	v_fmamk_f32 v35, v3, 0xbf3504f3, v30
	v_sub_f32_e32 v51, v62, v24
	v_fmac_f32_e32 v31, 0x3f3504f3, v3
	v_fmac_f32_e32 v34, 0x3f3504f3, v7
	v_fma_f32 v5, v5, 2.0, -v59
	v_fma_f32 v22, v22, 2.0, -v24
	;; [unrolled: 1-line block ×4, first 2 shown]
	v_fmamk_f32 v19, v23, 0x3f6c835e, v15
	v_fma_f32 v4, v52, 2.0, -v20
	v_fmac_f32_e32 v33, 0xbf3504f3, v8
	v_fmac_f32_e32 v35, 0xbf3504f3, v6
	v_fma_f32 v6, v27, 2.0, -v2
	v_fmamk_f32 v1, v61, 0x3f3504f3, v51
	v_fmamk_f32 v8, v34, 0x3ec3ef15, v31
	v_sub_f32_e32 v53, v5, v22
	v_fma_f32 v11, v11, 2.0, -v26
	v_fma_f32 v17, v17, 2.0, -v18
	;; [unrolled: 1-line block ×3, first 2 shown]
	v_fmamk_f32 v18, v50, 0xbec3ef15, v48
	v_fma_f32 v23, v57, 2.0, -v15
	v_fma_f32 v27, v59, 2.0, -v27
	;; [unrolled: 1-line block ×5, first 2 shown]
	v_fmac_f32_e32 v8, 0x3f6c835e, v33
	v_fmac_f32_e32 v1, 0xbf3504f3, v29
	v_fma_f32 v60, v9, 2.0, -v62
	v_fma_f32 v0, v0, 2.0, -v58
	v_sub_f32_e32 v54, v11, v17
	v_fmac_f32_e32 v18, 0x3f6c835e, v22
	v_fmamk_f32 v17, v22, 0xbec3ef15, v23
	v_fma_f32 v29, v28, 2.0, -v61
	v_fmamk_f32 v22, v52, 0xbf3504f3, v27
	v_fmamk_f32 v7, v33, 0x3ec3ef15, v35
	v_sub_f32_e32 v56, v49, v10
	v_fma_f32 v10, v31, 2.0, -v8
	v_sub_f32_e32 v0, v60, v0
	v_fma_f32 v26, v48, 2.0, -v18
	v_fmac_f32_e32 v17, 0xbf6c835e, v50
	v_fmac_f32_e32 v22, 0x3f3504f3, v29
	v_fma_f32 v50, v62, 2.0, -v51
	v_fma_f32 v48, v21, 2.0, -v31
	;; [unrolled: 1-line block ×7, first 2 shown]
	v_fmamk_f32 v21, v29, 0xbf3504f3, v50
	v_fmamk_f32 v30, v32, 0xbf6c835e, v48
	;; [unrolled: 1-line block ×3, first 2 shown]
	v_fma_f32 v5, v5, 2.0, -v53
	v_fma_f32 v11, v11, 2.0, -v54
	v_fma_f32 v23, v60, 2.0, -v0
	v_fma_f32 v27, v49, 2.0, -v56
	v_fmac_f32_e32 v19, 0xbec3ef15, v55
	v_fmac_f32_e32 v30, 0x3ec3ef15, v31
	;; [unrolled: 1-line block ×3, first 2 shown]
	v_sub_f32_e32 v32, v5, v11
	v_sub_f32_e32 v31, v23, v27
	v_lshlrev_b32_e32 v11, 11, v47
	v_fmac_f32_e32 v21, 0xbf3504f3, v52
	v_fma_f32 v3, v15, 2.0, -v19
	v_fmac_f32_e32 v7, 0xbf6c835e, v34
	v_add_f32_e32 v16, v53, v56
	v_sub_f32_e32 v15, v0, v54
	v_fma_f32 v34, v48, 2.0, -v30
	v_fma_f32 v33, v33, 2.0, -v29
	;; [unrolled: 1-line block ×4, first 2 shown]
	v_add3_u32 v11, 0, v11, v44
	v_fma_f32 v27, v50, 2.0, -v21
	v_fma_f32 v9, v35, 2.0, -v7
	;; [unrolled: 1-line block ×5, first 2 shown]
	ds_write2_b64 v11, v[48:49], v[33:34] offset1:16
	ds_write2_b64 v11, v[27:28], v[25:26] offset0:32 offset1:48
	ds_write2_b64 v11, v[23:24], v[9:10] offset0:64 offset1:80
	;; [unrolled: 1-line block ×7, first 2 shown]
.LBB0_16:
	s_or_b32 exec_lo, exec_lo, s0
	v_mul_u32_u24_e32 v0, 7, v47
	s_waitcnt vmcnt(0) lgkmcnt(0)
	s_barrier
	buffer_gl0_inv
	v_mul_lo_u32 v18, v47, v12
	v_lshlrev_b32_e32 v15, 3, v0
	v_lshlrev_b32_e32 v19, 4, v12
	v_add_lshl_u32 v13, v14, v13, 3
	s_or_b32 vcc_lo, s4, vcc_lo
	v_mul_lo_u32 v21, v45, v12
	s_clause 0x3
	global_load_dwordx4 v[8:11], v15, s[2:3]
	global_load_dwordx4 v[4:7], v15, s[2:3] offset:16
	global_load_dwordx4 v[0:3], v15, s[2:3] offset:32
	global_load_dwordx2 v[15:16], v15, s[2:3] offset:48
	v_add_lshl_u32 v22, v14, v36, 3
	v_readfirstlane_b32 s1, v39
	v_add_lshl_u32 v23, v14, v37, 3
	v_add_lshl_u32 v24, v14, v38, 3
	;; [unrolled: 1-line block ×6, first 2 shown]
	v_cndmask_b32_e32 v45, -1, v13, vcc_lo
	v_and_b32_e32 v13, 63, v18
	v_add_nc_u32_e32 v14, v18, v19
	v_lshlrev_b32_e32 v17, 7, v47
	v_mul_lo_u32 v20, v46, v12
	v_cndmask_b32_e32 v43, -1, v22, vcc_lo
	v_lshl_add_u32 v29, v13, 3, 0
	v_add_nc_u32_e32 v13, v14, v19
	v_add3_u32 v42, 0, v17, v44
	v_lshrrev_b32_e32 v17, 3, v18
	v_cndmask_b32_e32 v44, -1, v23, vcc_lo
	v_cndmask_b32_e32 v46, -1, v24, vcc_lo
	v_lshl_add_u32 v30, v12, 5, v13
	v_cndmask_b32_e32 v47, -1, v25, vcc_lo
	v_lshrrev_b32_e32 v18, 9, v18
	v_and_b32_e32 v22, 63, v20
	v_lshrrev_b32_e32 v23, 3, v20
	v_add_nc_u32_e32 v51, v30, v19
	v_lshrrev_b32_e32 v20, 9, v20
	v_and_b32_e32 v24, 63, v21
	v_lshrrev_b32_e32 v25, 3, v21
	v_and_b32_e32 v17, 0x1f8, v17
	v_lshrrev_b32_e32 v21, 9, v21
	s_add_i32 s0, 0, 0x4000
	v_lshrrev_b32_e32 v27, 3, v14
	v_add_nc_u32_e32 v52, v51, v19
	v_and_b32_e32 v18, 0x1f8, v18
	v_lshl_add_u32 v28, v22, 3, 0
	v_and_b32_e32 v22, 0x1f8, v23
	v_and_b32_e32 v20, 0x1f8, v20
	v_lshl_add_u32 v23, v24, 3, 0
	v_and_b32_e32 v24, 0x1f8, v25
	v_add_nc_u32_e32 v31, s0, v17
	v_lshrrev_b32_e32 v17, 3, v13
	v_and_b32_e32 v21, 0x1f8, v21
	v_and_b32_e32 v50, 63, v13
	v_lshrrev_b32_e32 v13, 9, v13
	v_and_b32_e32 v12, 0x1f8, v27
	v_and_b32_e32 v19, 63, v52
	v_add_nc_u32_e32 v48, s0, v18
	v_add_nc_u32_e32 v33, s0, v20
	v_add_nc_u32_e32 v18, s0, v24
	v_and_b32_e32 v20, 0x1f8, v17
	v_add_nc_u32_e32 v27, s0, v21
	v_and_b32_e32 v21, 0x1f8, v13
	v_and_b32_e32 v26, 63, v14
	v_add_nc_u32_e32 v22, s0, v22
	v_add_nc_u32_e32 v53, s0, v12
	ds_read_b64 v[12:13], v23 offset:16384
	ds_read_b64 v[17:18], v18 offset:512
	v_lshl_add_u32 v54, v19, 3, 0
	v_add_nc_u32_e32 v23, s0, v20
	v_add_nc_u32_e32 v24, s0, v21
	v_lshl_add_u32 v49, v26, 3, 0
	ds_read_b64 v[19:20], v22 offset:512
	ds_read_b32 v55, v54 offset:16388
	ds_read_b64 v[21:22], v23 offset:512
	ds_read_b64 v[25:26], v24 offset:1024
	;; [unrolled: 1-line block ×4, first 2 shown]
	v_and_b32_e32 v32, 63, v30
	v_lshrrev_b32_e32 v34, 3, v30
	v_lshrrev_b32_e32 v30, 9, v30
	;; [unrolled: 1-line block ×3, first 2 shown]
	v_lshl_add_u32 v50, v50, 3, 0
	v_lshl_add_u32 v32, v32, 3, 0
	v_and_b32_e32 v34, 0x1f8, v34
	v_and_b32_e32 v35, 0x1f8, v30
	ds_read_b32 v56, v29 offset:16384
	ds_read_b64 v[29:30], v32 offset:16384
	ds_read_b32 v57, v32 offset:16388
	ds_read_b64 v[31:32], v31 offset:512
	v_and_b32_e32 v14, 0x1f8, v14
	v_add_nc_u32_e32 v36, s0, v34
	s_waitcnt lgkmcnt(10)
	v_mul_f32_e32 v58, v13, v18
	v_mul_f32_e32 v59, v12, v18
	v_add_nc_u32_e32 v37, s0, v35
	ds_read_b64 v[33:34], v33 offset:1024
	ds_read_b64 v[35:36], v36 offset:512
	;; [unrolled: 1-line block ×3, first 2 shown]
	v_fma_f32 v18, v12, v17, -v58
	v_fmac_f32_e32 v59, v13, v17
	s_waitcnt lgkmcnt(8)
	v_mul_f32_e32 v17, v24, v20
	v_mul_f32_e32 v58, v23, v20
	ds_read_b64 v[12:13], v53 offset:512
	v_and_b32_e32 v20, 63, v51
	v_add_nc_u32_e32 v14, s0, v14
	v_fma_f32 v53, v23, v19, -v17
	v_fmac_f32_e32 v58, v24, v19
	v_lshrrev_b32_e32 v17, 3, v51
	s_waitcnt lgkmcnt(8)
	v_mul_f32_e32 v19, v59, v28
	v_lshrrev_b32_e32 v23, 9, v51
	v_mul_f32_e32 v51, v18, v28
	v_lshl_add_u32 v24, v20, 3, 0
	v_and_b32_e32 v28, 0x1f8, v17
	v_fma_f32 v60, v27, v18, -v19
	ds_read_b64 v[17:18], v48 offset:1024
	ds_read_b32 v49, v49 offset:16384
	ds_read_b64 v[19:20], v24 offset:16384
	s_waitcnt lgkmcnt(7)
	v_mul_f32_e32 v48, v30, v32
	v_mul_f32_e32 v32, v56, v32
	v_fmac_f32_e32 v51, v27, v59
	v_lshrrev_b32_e32 v27, 3, v52
	v_lshrrev_b32_e32 v52, 9, v52
	v_and_b32_e32 v23, 0x1f8, v23
	v_fmac_f32_e32 v32, v30, v31
	v_add_nc_u32_e32 v28, s0, v28
	v_fma_f32 v48, v56, v31, -v48
	s_waitcnt lgkmcnt(5)
	v_mul_f32_e32 v30, v57, v36
	v_mul_f32_e32 v59, v29, v36
	v_and_b32_e32 v36, 0x1f8, v27
	v_and_b32_e32 v52, 0x1f8, v52
	ds_read_b32 v56, v24 offset:16388
	v_add_nc_u32_e32 v31, s0, v23
	ds_read_b64 v[23:24], v28 offset:512
	v_fma_f32 v61, v29, v35, -v30
	ds_read_b64 v[27:28], v14 offset:1024
	ds_read_b32 v50, v50 offset:16384
	ds_read_b64 v[29:30], v54 offset:16384
	s_waitcnt lgkmcnt(7)
	v_mul_f32_e32 v62, v32, v18
	s_waitcnt lgkmcnt(5)
	v_mul_f32_e32 v14, v20, v13
	v_fmac_f32_e32 v59, v57, v35
	v_add_nc_u32_e32 v35, s0, v52
	v_cndmask_b32_e32 v39, -1, v39, vcc_lo
	v_fma_f32 v54, v17, v48, -v62
	v_mul_f32_e32 v48, v48, v18
	v_add_nc_u32_e32 v18, s0, v36
	v_fma_f32 v52, v49, v12, -v14
	v_mul_f32_e32 v49, v49, v13
	v_cndmask_b32_e32 v40, -1, v40, vcc_lo
	v_fmac_f32_e32 v48, v17, v32
	ds_read_b64 v[13:14], v31 offset:1024
	ds_read_b64 v[31:32], v18 offset:512
	;; [unrolled: 1-line block ×3, first 2 shown]
	v_cndmask_b32_e32 v41, -1, v41, vcc_lo
	v_fmac_f32_e32 v49, v20, v12
	s_waitcnt lgkmcnt(6)
	v_mul_f32_e32 v12, v56, v24
	v_mul_f32_e32 v57, v19, v24
	s_waitcnt lgkmcnt(5)
	v_mul_f32_e32 v17, v49, v28
	v_mul_f32_e32 v62, v52, v28
	s_waitcnt lgkmcnt(4)
	v_mul_f32_e32 v28, v50, v22
	v_fma_f32 v12, v19, v23, -v12
	v_fmac_f32_e32 v57, v56, v23
	s_waitcnt lgkmcnt(3)
	v_mul_f32_e32 v23, v30, v22
	v_mul_f32_e32 v22, v59, v38
	;; [unrolled: 1-line block ×3, first 2 shown]
	v_fmac_f32_e32 v28, v30, v21
	v_fma_f32 v52, v27, v52, -v17
	v_fmac_f32_e32 v62, v27, v49
	v_fma_f32 v27, v50, v21, -v23
	s_waitcnt lgkmcnt(1)
	v_mul_f32_e32 v30, v55, v32
	v_mul_f32_e32 v32, v29, v32
	v_fma_f32 v49, v37, v61, -v22
	v_fmac_f32_e32 v38, v37, v59
	ds_read2st64_b64 v[17:20], v42 offset1:4
	v_fma_f32 v37, v29, v31, -v30
	v_mul_f32_e32 v29, v28, v26
	v_mul_f32_e32 v30, v58, v34
	ds_read2st64_b64 v[21:24], v42 offset0:8 offset1:12
	v_mul_f32_e32 v50, v27, v26
	v_fmac_f32_e32 v32, v55, v31
	v_mul_f32_e32 v31, v53, v34
	v_fma_f32 v34, v25, v27, -v29
	v_mul_f32_e32 v29, v57, v14
	v_fma_f32 v53, v33, v53, -v30
	v_add_nc_u32_e32 v30, 0x3000, v42
	v_mul_f32_e32 v14, v12, v14
	v_fmac_f32_e32 v50, v25, v28
	ds_read2st64_b64 v[25:28], v42 offset0:16 offset1:20
	v_fmac_f32_e32 v31, v33, v58
	v_fma_f32 v33, v13, v12, -v29
	ds_read2_b32 v[29:30], v30 offset1:1
	v_fmac_f32_e32 v14, v13, v57
	ds_read_b64 v[12:13], v42 offset:14336
	s_waitcnt lgkmcnt(5)
	v_mul_f32_e32 v55, v32, v36
	v_mul_f32_e32 v36, v37, v36
	v_fma_f32 v37, v35, v37, -v55
	v_fmac_f32_e32 v36, v35, v32
	s_waitcnt vmcnt(3) lgkmcnt(4)
	v_mul_f32_e32 v32, v9, v20
	v_mul_f32_e32 v9, v9, v19
	s_waitcnt lgkmcnt(3)
	v_mul_f32_e32 v35, v11, v22
	v_mul_f32_e32 v11, v11, v21
	s_waitcnt vmcnt(2)
	v_mul_f32_e32 v42, v5, v24
	v_mul_f32_e32 v5, v5, v23
	v_fma_f32 v19, v8, v19, -v32
	v_fmac_f32_e32 v9, v8, v20
	v_fma_f32 v8, v10, v21, -v35
	v_fmac_f32_e32 v11, v10, v22
	s_waitcnt lgkmcnt(2)
	v_mul_f32_e32 v10, v7, v26
	v_mul_f32_e32 v7, v7, v25
	s_waitcnt vmcnt(1)
	v_mul_f32_e32 v20, v1, v28
	v_mul_f32_e32 v1, v1, v27
	v_fma_f32 v21, v4, v23, -v42
	v_fmac_f32_e32 v5, v4, v24
	s_waitcnt lgkmcnt(1)
	v_mul_f32_e32 v4, v30, v3
	v_mul_f32_e32 v3, v3, v29
	s_waitcnt vmcnt(0) lgkmcnt(0)
	v_mul_f32_e32 v22, v13, v16
	v_mul_f32_e32 v16, v12, v16
	v_fma_f32 v10, v6, v25, -v10
	v_fmac_f32_e32 v7, v6, v26
	v_fma_f32 v6, v0, v27, -v20
	v_fmac_f32_e32 v1, v0, v28
	;; [unrolled: 2-line block ×4, first 2 shown]
	v_sub_f32_e32 v4, v17, v10
	v_sub_f32_e32 v7, v18, v7
	;; [unrolled: 1-line block ×8, first 2 shown]
	v_fma_f32 v12, v17, 2.0, -v4
	v_fma_f32 v13, v18, 2.0, -v7
	;; [unrolled: 1-line block ×8, first 2 shown]
	v_sub_f32_e32 v3, v4, v3
	v_add_f32_e32 v0, v7, v0
	v_sub_f32_e32 v10, v6, v10
	v_add_f32_e32 v2, v1, v2
	v_sub_f32_e32 v8, v12, v8
	v_sub_f32_e32 v11, v13, v11
	;; [unrolled: 1-line block ×4, first 2 shown]
	v_fma_f32 v4, v4, 2.0, -v3
	v_fma_f32 v7, v7, 2.0, -v0
	v_fma_f32 v6, v6, 2.0, -v10
	v_fma_f32 v1, v1, 2.0, -v2
	v_fmamk_f32 v18, v2, 0x3f3504f3, v0
	v_fma_f32 v12, v12, 2.0, -v8
	v_fma_f32 v13, v13, 2.0, -v11
	;; [unrolled: 1-line block ×4, first 2 shown]
	v_fmamk_f32 v19, v6, 0xbf3504f3, v4
	v_fmamk_f32 v20, v1, 0xbf3504f3, v7
	;; [unrolled: 1-line block ×3, first 2 shown]
	v_fmac_f32_e32 v18, 0x3f3504f3, v10
	v_sub_f32_e32 v10, v12, v15
	v_sub_f32_e32 v22, v13, v9
	;; [unrolled: 1-line block ×3, first 2 shown]
	v_fmac_f32_e32 v19, 0xbf3504f3, v1
	v_fmac_f32_e32 v20, 0x3f3504f3, v6
	v_add_f32_e32 v16, v11, v16
	v_fmac_f32_e32 v17, 0xbf3504f3, v2
	v_fma_f32 v12, v12, 2.0, -v10
	v_fma_f32 v25, v13, 2.0, -v22
	v_mul_f32_e32 v1, v21, v36
	v_fma_f32 v26, v4, 2.0, -v19
	v_fma_f32 v27, v7, 2.0, -v20
	;; [unrolled: 1-line block ×6, first 2 shown]
	v_mul_f32_e32 v30, v20, v14
	v_mul_f32_e32 v11, v19, v14
	;; [unrolled: 1-line block ×5, first 2 shown]
	v_fmac_f32_e32 v1, v16, v37
	v_mul_f32_e32 v16, v27, v62
	v_mul_f32_e32 v15, v26, v62
	;; [unrolled: 1-line block ×10, first 2 shown]
	v_fma_f32 v12, v12, v54, -v14
	v_fmac_f32_e32 v13, v25, v54
	v_fma_f32 v14, v26, v52, -v16
	v_fmac_f32_e32 v15, v27, v52
	;; [unrolled: 2-line block ×5, first 2 shown]
	v_fma_f32 v0, v21, v37, -v0
	v_fma_f32 v2, v17, v60, -v2
	v_fmac_f32_e32 v3, v18, v60
	v_fma_f32 v10, v19, v33, -v30
	v_fmac_f32_e32 v11, v20, v33
	buffer_store_dwordx2 v[12:13], v43, s[8:11], s1 offen
	buffer_store_dwordx2 v[14:15], v44, s[8:11], s1 offen
	buffer_store_dwordx2 v[4:5], v45, s[8:11], s1 offen
	buffer_store_dwordx2 v[6:7], v46, s[8:11], s1 offen
	buffer_store_dwordx2 v[8:9], v47, s[8:11], s1 offen
	buffer_store_dwordx2 v[10:11], v39, s[8:11], s1 offen
	buffer_store_dwordx2 v[0:1], v40, s[8:11], s1 offen
	buffer_store_dwordx2 v[2:3], v41, s[8:11], s1 offen
	s_endpgm
	.section	.rodata,"a",@progbits
	.p2align	6, 0x0
	.amdhsa_kernel fft_rtc_fwd_len128_factors_16_8_wgs_256_tpt_16_sp_ip_CI_sbcc_twdbase6_3step_dirReg_intrinsicReadWrite
		.amdhsa_group_segment_fixed_size 0
		.amdhsa_private_segment_fixed_size 0
		.amdhsa_kernarg_size 96
		.amdhsa_user_sgpr_count 6
		.amdhsa_user_sgpr_private_segment_buffer 1
		.amdhsa_user_sgpr_dispatch_ptr 0
		.amdhsa_user_sgpr_queue_ptr 0
		.amdhsa_user_sgpr_kernarg_segment_ptr 1
		.amdhsa_user_sgpr_dispatch_id 0
		.amdhsa_user_sgpr_flat_scratch_init 0
		.amdhsa_user_sgpr_private_segment_size 0
		.amdhsa_wavefront_size32 1
		.amdhsa_uses_dynamic_stack 0
		.amdhsa_system_sgpr_private_segment_wavefront_offset 0
		.amdhsa_system_sgpr_workgroup_id_x 1
		.amdhsa_system_sgpr_workgroup_id_y 0
		.amdhsa_system_sgpr_workgroup_id_z 0
		.amdhsa_system_sgpr_workgroup_info 0
		.amdhsa_system_vgpr_workitem_id 0
		.amdhsa_next_free_vgpr 63
		.amdhsa_next_free_sgpr 41
		.amdhsa_reserve_vcc 1
		.amdhsa_reserve_flat_scratch 0
		.amdhsa_float_round_mode_32 0
		.amdhsa_float_round_mode_16_64 0
		.amdhsa_float_denorm_mode_32 3
		.amdhsa_float_denorm_mode_16_64 3
		.amdhsa_dx10_clamp 1
		.amdhsa_ieee_mode 1
		.amdhsa_fp16_overflow 0
		.amdhsa_workgroup_processor_mode 1
		.amdhsa_memory_ordered 1
		.amdhsa_forward_progress 0
		.amdhsa_shared_vgpr_count 0
		.amdhsa_exception_fp_ieee_invalid_op 0
		.amdhsa_exception_fp_denorm_src 0
		.amdhsa_exception_fp_ieee_div_zero 0
		.amdhsa_exception_fp_ieee_overflow 0
		.amdhsa_exception_fp_ieee_underflow 0
		.amdhsa_exception_fp_ieee_inexact 0
		.amdhsa_exception_int_div_zero 0
	.end_amdhsa_kernel
	.text
.Lfunc_end0:
	.size	fft_rtc_fwd_len128_factors_16_8_wgs_256_tpt_16_sp_ip_CI_sbcc_twdbase6_3step_dirReg_intrinsicReadWrite, .Lfunc_end0-fft_rtc_fwd_len128_factors_16_8_wgs_256_tpt_16_sp_ip_CI_sbcc_twdbase6_3step_dirReg_intrinsicReadWrite
                                        ; -- End function
	.section	.AMDGPU.csdata,"",@progbits
; Kernel info:
; codeLenInByte = 5108
; NumSgprs: 43
; NumVgprs: 63
; ScratchSize: 0
; MemoryBound: 0
; FloatMode: 240
; IeeeMode: 1
; LDSByteSize: 0 bytes/workgroup (compile time only)
; SGPRBlocks: 5
; VGPRBlocks: 7
; NumSGPRsForWavesPerEU: 43
; NumVGPRsForWavesPerEU: 63
; Occupancy: 16
; WaveLimiterHint : 0
; COMPUTE_PGM_RSRC2:SCRATCH_EN: 0
; COMPUTE_PGM_RSRC2:USER_SGPR: 6
; COMPUTE_PGM_RSRC2:TRAP_HANDLER: 0
; COMPUTE_PGM_RSRC2:TGID_X_EN: 1
; COMPUTE_PGM_RSRC2:TGID_Y_EN: 0
; COMPUTE_PGM_RSRC2:TGID_Z_EN: 0
; COMPUTE_PGM_RSRC2:TIDIG_COMP_CNT: 0
	.text
	.p2alignl 6, 3214868480
	.fill 48, 4, 3214868480
	.type	__hip_cuid_f279ad9816482611,@object ; @__hip_cuid_f279ad9816482611
	.section	.bss,"aw",@nobits
	.globl	__hip_cuid_f279ad9816482611
__hip_cuid_f279ad9816482611:
	.byte	0                               ; 0x0
	.size	__hip_cuid_f279ad9816482611, 1

	.ident	"AMD clang version 19.0.0git (https://github.com/RadeonOpenCompute/llvm-project roc-6.4.0 25133 c7fe45cf4b819c5991fe208aaa96edf142730f1d)"
	.section	".note.GNU-stack","",@progbits
	.addrsig
	.addrsig_sym __hip_cuid_f279ad9816482611
	.amdgpu_metadata
---
amdhsa.kernels:
  - .args:
      - .actual_access:  read_only
        .address_space:  global
        .offset:         0
        .size:           8
        .value_kind:     global_buffer
      - .address_space:  global
        .offset:         8
        .size:           8
        .value_kind:     global_buffer
      - .offset:         16
        .size:           8
        .value_kind:     by_value
      - .actual_access:  read_only
        .address_space:  global
        .offset:         24
        .size:           8
        .value_kind:     global_buffer
      - .actual_access:  read_only
        .address_space:  global
        .offset:         32
        .size:           8
        .value_kind:     global_buffer
      - .offset:         40
        .size:           8
        .value_kind:     by_value
      - .actual_access:  read_only
        .address_space:  global
        .offset:         48
        .size:           8
        .value_kind:     global_buffer
      - .actual_access:  read_only
        .address_space:  global
        .offset:         56
        .size:           8
        .value_kind:     global_buffer
      - .offset:         64
        .size:           4
        .value_kind:     by_value
      - .actual_access:  read_only
        .address_space:  global
        .offset:         72
        .size:           8
        .value_kind:     global_buffer
      - .actual_access:  read_only
        .address_space:  global
        .offset:         80
        .size:           8
        .value_kind:     global_buffer
      - .address_space:  global
        .offset:         88
        .size:           8
        .value_kind:     global_buffer
    .group_segment_fixed_size: 0
    .kernarg_segment_align: 8
    .kernarg_segment_size: 96
    .language:       OpenCL C
    .language_version:
      - 2
      - 0
    .max_flat_workgroup_size: 256
    .name:           fft_rtc_fwd_len128_factors_16_8_wgs_256_tpt_16_sp_ip_CI_sbcc_twdbase6_3step_dirReg_intrinsicReadWrite
    .private_segment_fixed_size: 0
    .sgpr_count:     43
    .sgpr_spill_count: 0
    .symbol:         fft_rtc_fwd_len128_factors_16_8_wgs_256_tpt_16_sp_ip_CI_sbcc_twdbase6_3step_dirReg_intrinsicReadWrite.kd
    .uniform_work_group_size: 1
    .uses_dynamic_stack: false
    .vgpr_count:     63
    .vgpr_spill_count: 0
    .wavefront_size: 32
    .workgroup_processor_mode: 1
amdhsa.target:   amdgcn-amd-amdhsa--gfx1030
amdhsa.version:
  - 1
  - 2
...

	.end_amdgpu_metadata
